;; amdgpu-corpus repo=ROCm/rocFFT kind=compiled arch=gfx906 opt=O3
	.text
	.amdgcn_target "amdgcn-amd-amdhsa--gfx906"
	.amdhsa_code_object_version 6
	.protected	bluestein_single_fwd_len105_dim1_sp_op_CI_CI ; -- Begin function bluestein_single_fwd_len105_dim1_sp_op_CI_CI
	.globl	bluestein_single_fwd_len105_dim1_sp_op_CI_CI
	.p2align	8
	.type	bluestein_single_fwd_len105_dim1_sp_op_CI_CI,@function
bluestein_single_fwd_len105_dim1_sp_op_CI_CI: ; @bluestein_single_fwd_len105_dim1_sp_op_CI_CI
; %bb.0:
	v_mul_u32_u24_e32 v1, 0xc31, v0
	s_load_dwordx4 s[0:3], s[4:5], 0x28
	v_lshrrev_b32_e32 v1, 16, v1
	v_mad_u64_u32 v[28:29], s[6:7], s6, 12, v[1:2]
	v_mov_b32_e32 v29, 0
	s_waitcnt lgkmcnt(0)
	v_cmp_gt_u64_e32 vcc, s[0:1], v[28:29]
	s_and_saveexec_b64 s[0:1], vcc
	s_cbranch_execz .LBB0_23
; %bb.1:
	s_mov_b32 s0, 0xaaaaaaab
	v_mul_hi_u32 v2, v28, s0
	s_load_dwordx2 s[10:11], s[4:5], 0x0
	s_load_dwordx2 s[8:9], s[4:5], 0x38
	v_mul_lo_u16_e32 v1, 21, v1
	v_sub_u16_e32 v31, v0, v1
	v_lshrrev_b32_e32 v2, 3, v2
	v_mul_lo_u32 v2, v2, 12
	v_cmp_gt_u16_e32 vcc, 15, v31
	v_lshlrev_b32_e32 v32, 3, v31
	v_sub_u32_e32 v0, v28, v2
	v_mul_u32_u24_e32 v22, 0x69, v0
	v_lshlrev_b32_e32 v33, 3, v22
	s_and_saveexec_b64 s[6:7], vcc
	s_cbranch_execz .LBB0_3
; %bb.2:
	s_load_dwordx2 s[0:1], s[4:5], 0x18
	v_add_u32_e32 v36, v33, v32
	s_waitcnt lgkmcnt(0)
	s_load_dwordx4 s[12:15], s[0:1], 0x0
	s_waitcnt lgkmcnt(0)
	v_mad_u64_u32 v[0:1], s[0:1], s14, v28, 0
	v_mad_u64_u32 v[2:3], s[0:1], s12, v31, 0
	;; [unrolled: 1-line block ×4, first 2 shown]
	v_mov_b32_e32 v1, v4
	v_lshlrev_b64 v[0:1], 3, v[0:1]
	v_mov_b32_e32 v3, v5
	v_mov_b32_e32 v6, s3
	v_lshlrev_b64 v[2:3], 3, v[2:3]
	v_add_co_u32_e64 v0, s[0:1], s2, v0
	v_addc_co_u32_e64 v1, s[0:1], v6, v1, s[0:1]
	v_add_co_u32_e64 v0, s[0:1], v0, v2
	v_addc_co_u32_e64 v1, s[0:1], v1, v3, s[0:1]
	s_mul_i32 s0, s13, 0x78
	s_mul_hi_u32 s1, s12, 0x78
	s_add_i32 s2, s1, s0
	s_mul_i32 s3, s12, 0x78
	v_mov_b32_e32 v5, s2
	v_add_co_u32_e64 v4, s[0:1], s3, v0
	v_addc_co_u32_e64 v5, s[0:1], v1, v5, s[0:1]
	v_mov_b32_e32 v7, s2
	v_add_co_u32_e64 v6, s[0:1], s3, v4
	v_addc_co_u32_e64 v7, s[0:1], v5, v7, s[0:1]
	v_mov_b32_e32 v9, s2
	v_add_co_u32_e64 v8, s[0:1], s3, v6
	global_load_dwordx2 v[2:3], v32, s[10:11]
	v_addc_co_u32_e64 v9, s[0:1], v7, v9, s[0:1]
	global_load_dwordx2 v[10:11], v[0:1], off
	global_load_dwordx2 v[12:13], v[4:5], off
	;; [unrolled: 1-line block ×4, first 2 shown]
	global_load_dwordx2 v[18:19], v32, s[10:11] offset:120
	global_load_dwordx2 v[20:21], v32, s[10:11] offset:240
	;; [unrolled: 1-line block ×3, first 2 shown]
	v_mov_b32_e32 v1, s2
	v_add_co_u32_e64 v0, s[0:1], s3, v8
	v_addc_co_u32_e64 v1, s[0:1], v9, v1, s[0:1]
	global_load_dwordx2 v[4:5], v[0:1], off
	v_mov_b32_e32 v6, s2
	v_add_co_u32_e64 v0, s[0:1], s3, v0
	v_addc_co_u32_e64 v1, s[0:1], v1, v6, s[0:1]
	global_load_dwordx2 v[6:7], v32, s[10:11] offset:480
	global_load_dwordx2 v[8:9], v[0:1], off
	global_load_dwordx2 v[25:26], v32, s[10:11] offset:600
	v_mov_b32_e32 v27, s2
	v_add_co_u32_e64 v0, s[0:1], s3, v0
	v_addc_co_u32_e64 v1, s[0:1], v1, v27, s[0:1]
	global_load_dwordx2 v[29:30], v32, s[10:11] offset:720
	global_load_dwordx2 v[34:35], v[0:1], off
	v_lshl_add_u32 v27, v31, 3, v33
	s_waitcnt vmcnt(12)
	v_mul_f32_e32 v1, v10, v3
	v_mul_f32_e32 v0, v11, v3
	v_fma_f32 v1, v11, v2, -v1
	v_fmac_f32_e32 v0, v10, v2
	s_waitcnt vmcnt(8)
	v_mul_f32_e32 v2, v13, v19
	v_mul_f32_e32 v3, v12, v19
	ds_write_b64 v27, v[0:1]
	s_waitcnt vmcnt(7)
	v_mul_f32_e32 v0, v15, v21
	v_mul_f32_e32 v1, v14, v21
	v_fmac_f32_e32 v2, v12, v18
	v_fma_f32 v3, v13, v18, -v3
	v_fmac_f32_e32 v0, v14, v20
	v_fma_f32 v1, v15, v20, -v1
	s_waitcnt vmcnt(6)
	v_mul_f32_e32 v10, v17, v24
	v_mul_f32_e32 v11, v16, v24
	ds_write2_b64 v36, v[2:3], v[0:1] offset0:15 offset1:30
	s_waitcnt vmcnt(4)
	v_mul_f32_e32 v0, v5, v7
	v_mul_f32_e32 v1, v4, v7
	v_fmac_f32_e32 v10, v16, v23
	v_fma_f32 v11, v17, v23, -v11
	v_fmac_f32_e32 v0, v4, v6
	v_fma_f32 v1, v5, v6, -v1
	s_waitcnt vmcnt(2)
	v_mul_f32_e32 v2, v9, v26
	v_mul_f32_e32 v3, v8, v26
	ds_write2_b64 v36, v[10:11], v[0:1] offset0:45 offset1:60
	s_waitcnt vmcnt(0)
	v_mul_f32_e32 v0, v35, v30
	v_mul_f32_e32 v1, v34, v30
	v_fmac_f32_e32 v2, v8, v25
	v_fma_f32 v3, v9, v25, -v3
	v_fmac_f32_e32 v0, v34, v29
	v_fma_f32 v1, v35, v29, -v1
	ds_write2_b64 v36, v[2:3], v[0:1] offset0:75 offset1:90
.LBB0_3:
	s_or_b64 exec, exec, s[6:7]
	v_mov_b32_e32 v2, 0
	v_mov_b32_e32 v3, 0
	;; [unrolled: 1-line block ×8, first 2 shown]
	s_waitcnt lgkmcnt(0)
	s_barrier
	s_waitcnt lgkmcnt(0)
                                        ; implicit-def: $vgpr12
	s_and_saveexec_b64 s[0:1], vcc
	s_cbranch_execz .LBB0_5
; %bb.4:
	v_lshl_add_u32 v12, v22, 3, v32
	ds_read2_b64 v[0:3], v12 offset1:15
	ds_read2_b64 v[4:7], v12 offset0:30 offset1:45
	ds_read2_b64 v[8:11], v12 offset0:60 offset1:75
	ds_read_b64 v[12:13], v12 offset:720
.LBB0_5:
	s_or_b64 exec, exec, s[0:1]
	s_waitcnt lgkmcnt(0)
	v_add_f32_e32 v14, v12, v2
	v_add_f32_e32 v15, v13, v3
	v_sub_f32_e32 v2, v2, v12
	v_sub_f32_e32 v3, v3, v13
	v_add_f32_e32 v12, v10, v4
	v_add_f32_e32 v13, v11, v5
	v_sub_f32_e32 v4, v4, v10
	v_sub_f32_e32 v5, v5, v11
	;; [unrolled: 4-line block ×3, first 2 shown]
	v_add_f32_e32 v8, v14, v12
	v_add_f32_e32 v9, v15, v13
	;; [unrolled: 1-line block ×4, first 2 shown]
	v_sub_f32_e32 v16, v12, v14
	v_sub_f32_e32 v17, v13, v15
	;; [unrolled: 1-line block ×4, first 2 shown]
	v_add_f32_e32 v0, v8, v0
	v_add_f32_e32 v1, v9, v1
	v_sub_f32_e32 v14, v14, v10
	v_sub_f32_e32 v15, v15, v11
	v_add_f32_e32 v18, v4, v6
	v_add_f32_e32 v19, v5, v7
	v_sub_f32_e32 v20, v6, v4
	v_sub_f32_e32 v21, v7, v5
	v_mul_f32_e32 v12, 0x3d64c772, v12
	v_mul_f32_e32 v13, 0x3d64c772, v13
	v_mov_b32_e32 v23, v0
	v_mov_b32_e32 v24, v1
	s_mov_b32 s1, 0x3f3bfb3b
	s_load_dwordx2 s[6:7], s[4:5], 0x20
	s_load_dwordx2 s[2:3], s[4:5], 0x8
	v_sub_f32_e32 v6, v2, v6
	v_sub_f32_e32 v7, v3, v7
	;; [unrolled: 1-line block ×4, first 2 shown]
	v_add_f32_e32 v10, v2, v18
	v_add_f32_e32 v11, v3, v19
	v_mul_f32_e32 v18, 0x3f4a47b2, v14
	v_mul_f32_e32 v19, 0x3f4a47b2, v15
	;; [unrolled: 1-line block ×4, first 2 shown]
	s_mov_b32 s0, 0x3f5ff5aa
	v_fmac_f32_e32 v23, 0xbf955555, v8
	v_fmac_f32_e32 v24, 0xbf955555, v9
	v_fma_f32 v8, v16, s1, -v12
	v_fma_f32 v9, v17, s1, -v13
	s_mov_b32 s1, 0xbf3bfb3b
	v_mul_f32_e32 v20, 0x3f5ff5aa, v4
	v_mul_f32_e32 v21, 0x3f5ff5aa, v5
	v_fmac_f32_e32 v12, 0x3f4a47b2, v14
	v_fmac_f32_e32 v13, 0x3f4a47b2, v15
	v_fma_f32 v14, v16, s1, -v18
	v_fma_f32 v15, v17, s1, -v19
	;; [unrolled: 1-line block ×4, first 2 shown]
	s_mov_b32 s0, 0xbeae86e6
	v_fmac_f32_e32 v2, 0x3eae86e6, v6
	v_fmac_f32_e32 v3, 0x3eae86e6, v7
	v_fma_f32 v5, v6, s0, -v20
	v_fma_f32 v6, v7, s0, -v21
	v_add_f32_e32 v4, v12, v23
	v_add_f32_e32 v7, v13, v24
	;; [unrolled: 1-line block ×6, first 2 shown]
	v_fmac_f32_e32 v2, 0x3ee1c552, v10
	v_fmac_f32_e32 v3, 0x3ee1c552, v11
	;; [unrolled: 1-line block ×6, first 2 shown]
	v_sub_f32_e32 v12, v18, v16
	v_add_f32_e32 v13, v17, v19
	v_add_f32_e32 v16, v18, v16
	v_sub_f32_e32 v17, v19, v17
	v_sub_f32_e32 v14, v8, v6
	v_add_f32_e32 v15, v5, v9
	v_sub_f32_e32 v18, v4, v3
	v_add_f32_e32 v19, v2, v7
	v_mul_lo_u16_e32 v37, 7, v31
	s_waitcnt lgkmcnt(0)
	s_barrier
	s_and_saveexec_b64 s[0:1], vcc
	s_cbranch_execz .LBB0_7
; %bb.6:
	v_sub_f32_e32 v9, v9, v5
	v_sub_f32_e32 v5, v7, v2
	v_add_f32_e32 v4, v4, v3
	v_add_lshl_u32 v2, v22, v37, 3
	v_add_f32_e32 v8, v8, v6
	ds_write2_b64 v2, v[0:1], v[4:5] offset1:1
	ds_write2_b64 v2, v[8:9], v[12:13] offset0:2 offset1:3
	ds_write2_b64 v2, v[16:17], v[14:15] offset0:4 offset1:5
	ds_write_b64 v2, v[18:19] offset:48
.LBB0_7:
	s_or_b64 exec, exec, s[0:1]
	v_add_lshl_u32 v35, v22, v31, 3
	s_waitcnt lgkmcnt(0)
	s_barrier
	ds_read2_b64 v[8:11], v35 offset1:35
	ds_read_b64 v[20:21], v35 offset:560
	v_cmp_gt_u16_e64 s[0:1], 14, v31
	s_and_saveexec_b64 s[4:5], s[0:1]
	s_cbranch_execz .LBB0_9
; %bb.8:
	ds_read2_b64 v[0:3], v35 offset0:21 offset1:56
	ds_read_b64 v[14:15], v35 offset:728
	s_waitcnt lgkmcnt(1)
	v_mov_b32_e32 v12, v0
	v_mov_b32_e32 v13, v1
	;; [unrolled: 1-line block ×4, first 2 shown]
.LBB0_9:
	s_or_b64 exec, exec, s[4:5]
	v_mov_b32_e32 v0, 37
	v_mul_lo_u16_sdwa v1, v31, v0 dst_sel:DWORD dst_unused:UNUSED_PAD src0_sel:BYTE_0 src1_sel:DWORD
	v_sub_u16_sdwa v2, v31, v1 dst_sel:DWORD dst_unused:UNUSED_PAD src0_sel:DWORD src1_sel:BYTE_1
	v_lshrrev_b16_e32 v2, 1, v2
	v_and_b32_e32 v2, 0x7f, v2
	v_add_u16_sdwa v1, v2, v1 dst_sel:DWORD dst_unused:UNUSED_PAD src0_sel:DWORD src1_sel:BYTE_1
	v_add_u16_e32 v2, 21, v31
	v_mul_lo_u16_sdwa v0, v2, v0 dst_sel:DWORD dst_unused:UNUSED_PAD src0_sel:BYTE_0 src1_sel:DWORD
	v_sub_u16_sdwa v3, v2, v0 dst_sel:DWORD dst_unused:UNUSED_PAD src0_sel:DWORD src1_sel:BYTE_1
	v_lshrrev_b16_e32 v3, 1, v3
	v_lshrrev_b16_e32 v23, 2, v1
	v_and_b32_e32 v3, 0x7f, v3
	v_mul_lo_u16_e32 v1, 7, v23
	v_add_u16_sdwa v0, v3, v0 dst_sel:DWORD dst_unused:UNUSED_PAD src0_sel:DWORD src1_sel:BYTE_1
	v_sub_u16_e32 v24, v31, v1
	v_lshrrev_b16_e32 v27, 2, v0
	v_lshlrev_b16_e32 v1, 1, v24
	v_mul_lo_u16_e32 v0, 7, v27
	v_and_b32_e32 v1, 0xfe, v1
	v_sub_u16_e32 v36, v2, v0
	v_mov_b32_e32 v0, 4
	v_lshlrev_b32_e32 v1, 3, v1
	v_lshlrev_b32_sdwa v0, v0, v36 dst_sel:DWORD dst_unused:UNUSED_PAD src0_sel:DWORD src1_sel:BYTE_0
	global_load_dwordx4 v[4:7], v1, s[2:3]
	v_mad_legacy_u16 v23, v23, 21, v24
	global_load_dwordx4 v[0:3], v0, s[2:3]
	v_and_b32_e32 v23, 0xff, v23
	v_add_lshl_u32 v38, v22, v23, 3
	s_load_dwordx4 s[4:7], s[6:7], 0x0
	s_waitcnt vmcnt(0) lgkmcnt(0)
	s_barrier
	v_mul_f32_e32 v25, v11, v5
	v_mul_f32_e32 v26, v10, v5
	;; [unrolled: 1-line block ×8, first 2 shown]
	v_fma_f32 v29, v20, v6, -v29
	v_fmac_f32_e32 v30, v21, v6
	v_fma_f32 v20, v10, v4, -v25
	v_fmac_f32_e32 v26, v11, v4
	v_fma_f32 v10, v16, v0, -v34
	v_fmac_f32_e32 v23, v17, v0
	v_fma_f32 v11, v14, v2, -v39
	v_fmac_f32_e32 v24, v15, v2
	v_add_f32_e32 v17, v20, v29
	v_add_f32_e32 v21, v26, v30
	;; [unrolled: 1-line block ×6, first 2 shown]
	v_sub_f32_e32 v40, v20, v29
	v_fma_f32 v20, -0.5, v17, v8
	v_fma_f32 v21, -0.5, v21, v9
	;; [unrolled: 1-line block ×4, first 2 shown]
	v_sub_f32_e32 v34, v26, v30
	v_sub_f32_e32 v14, v23, v24
	;; [unrolled: 1-line block ×3, first 2 shown]
	v_add_f32_e32 v25, v16, v29
	v_mov_b32_e32 v16, v8
	v_mov_b32_e32 v17, v9
	v_add_f32_e32 v26, v39, v30
	v_mov_b32_e32 v29, v20
	v_fmac_f32_e32 v20, 0xbf5db3d7, v34
	v_mov_b32_e32 v30, v21
	v_fmac_f32_e32 v21, 0x3f5db3d7, v40
	v_fmac_f32_e32 v16, 0xbf5db3d7, v14
	;; [unrolled: 1-line block ×3, first 2 shown]
	v_mul_u32_u24_e32 v39, 21, v27
	v_fmac_f32_e32 v29, 0x3f5db3d7, v34
	v_fmac_f32_e32 v30, 0xbf5db3d7, v40
	ds_write_b64 v38, v[20:21] offset:112
	ds_write2_b64 v38, v[25:26], v[29:30] offset1:7
	s_and_saveexec_b64 s[12:13], s[0:1]
	s_cbranch_execz .LBB0_11
; %bb.10:
	v_add_f32_e32 v10, v12, v10
	v_mul_f32_e32 v14, 0x3f5db3d7, v14
	v_mul_f32_e32 v15, 0x3f5db3d7, v15
	v_add_f32_e32 v13, v13, v23
	v_add_f32_e32 v12, v10, v11
	v_add_u32_sdwa v10, v39, v36 dst_sel:DWORD dst_unused:UNUSED_PAD src0_sel:DWORD src1_sel:BYTE_0
	v_sub_f32_e32 v9, v9, v15
	v_add_f32_e32 v8, v14, v8
	v_add_f32_e32 v13, v13, v24
	v_add_lshl_u32 v10, v22, v10, 3
	ds_write2_b64 v10, v[12:13], v[8:9] offset1:7
	ds_write_b64 v10, v[16:17] offset:112
.LBB0_11:
	s_or_b64 exec, exec, s[12:13]
	v_lshlrev_b32_e32 v20, 5, v31
	s_waitcnt lgkmcnt(0)
	s_barrier
	global_load_dwordx4 v[12:15], v20, s[2:3] offset:112
	global_load_dwordx4 v[8:11], v20, s[2:3] offset:128
	ds_read2_b64 v[22:25], v35 offset0:21 offset1:42
	ds_read_b64 v[20:21], v35
	ds_read2_b64 v[40:43], v35 offset0:63 offset1:84
	v_lshl_add_u32 v34, v31, 3, v33
	s_waitcnt vmcnt(1) lgkmcnt(2)
	v_mul_f32_e32 v26, v23, v13
	v_mul_f32_e32 v27, v22, v13
	;; [unrolled: 1-line block ×4, first 2 shown]
	s_waitcnt vmcnt(0) lgkmcnt(0)
	v_mul_f32_e32 v44, v41, v9
	v_mul_f32_e32 v45, v40, v9
	;; [unrolled: 1-line block ×4, first 2 shown]
	v_fma_f32 v22, v22, v12, -v26
	v_fmac_f32_e32 v27, v23, v12
	v_fma_f32 v23, v24, v14, -v29
	v_fmac_f32_e32 v30, v25, v14
	;; [unrolled: 2-line block ×4, first 2 shown]
	v_add_f32_e32 v25, v20, v22
	v_add_f32_e32 v26, v23, v24
	;; [unrolled: 1-line block ×5, first 2 shown]
	v_sub_f32_e32 v40, v27, v47
	v_sub_f32_e32 v42, v22, v23
	;; [unrolled: 1-line block ×5, first 2 shown]
	v_add_f32_e32 v49, v21, v27
	v_sub_f32_e32 v51, v22, v29
	v_sub_f32_e32 v52, v23, v24
	;; [unrolled: 1-line block ×5, first 2 shown]
	v_add_f32_e32 v25, v25, v23
	v_fma_f32 v22, -0.5, v26, v20
	v_fma_f32 v20, -0.5, v44, v20
	;; [unrolled: 1-line block ×3, first 2 shown]
	v_fmac_f32_e32 v21, -0.5, v55
	v_sub_f32_e32 v41, v30, v45
	v_add_f32_e32 v42, v42, v43
	v_add_f32_e32 v43, v46, v48
	;; [unrolled: 1-line block ×4, first 2 shown]
	v_mov_b32_e32 v24, v22
	v_mov_b32_e32 v26, v20
	v_mov_b32_e32 v25, v23
	v_mov_b32_e32 v27, v21
	v_sub_f32_e32 v54, v47, v45
	v_add_f32_e32 v30, v49, v30
	v_fmac_f32_e32 v22, 0xbf737871, v40
	v_fmac_f32_e32 v20, 0x3f737871, v41
	;; [unrolled: 1-line block ×8, first 2 shown]
	v_add_f32_e32 v44, v53, v54
	v_add_f32_e32 v30, v30, v45
	v_fmac_f32_e32 v22, 0xbf167918, v41
	v_fmac_f32_e32 v20, 0xbf167918, v40
	;; [unrolled: 1-line block ×8, first 2 shown]
	v_add_f32_e32 v29, v48, v29
	v_add_f32_e32 v30, v30, v47
	v_fmac_f32_e32 v22, 0x3e9e377a, v42
	v_fmac_f32_e32 v20, 0x3e9e377a, v43
	;; [unrolled: 1-line block ×8, first 2 shown]
	ds_write_b64 v34, v[29:30]
	ds_write2_b64 v34, v[20:21], v[22:23] offset0:63 offset1:84
	ds_write2_b64 v34, v[24:25], v[26:27] offset0:21 offset1:42
	s_waitcnt lgkmcnt(0)
	s_barrier
	s_and_saveexec_b64 s[2:3], vcc
	s_cbranch_execz .LBB0_13
; %bb.12:
	global_load_dwordx2 v[42:43], v32, s[10:11] offset:840
	ds_read_b64 v[40:41], v34
	s_add_u32 s12, s10, 0x348
	s_addc_u32 s13, s11, 0
	s_waitcnt vmcnt(0) lgkmcnt(0)
	v_mul_f32_e32 v44, v41, v43
	v_mul_f32_e32 v45, v40, v43
	v_fma_f32 v44, v40, v42, -v44
	v_fmac_f32_e32 v45, v41, v42
	ds_write_b64 v34, v[44:45]
	global_load_dwordx2 v[44:45], v32, s[12:13] offset:120
	ds_read2_b64 v[40:43], v34 offset0:15 offset1:30
	s_waitcnt vmcnt(0) lgkmcnt(0)
	v_mul_f32_e32 v46, v41, v45
	v_mul_f32_e32 v47, v40, v45
	v_fma_f32 v46, v40, v44, -v46
	v_fmac_f32_e32 v47, v41, v44
	global_load_dwordx2 v[40:41], v32, s[12:13] offset:240
	s_waitcnt vmcnt(0)
	v_mul_f32_e32 v44, v43, v41
	v_mul_f32_e32 v45, v42, v41
	v_fma_f32 v44, v42, v40, -v44
	v_fmac_f32_e32 v45, v43, v40
	ds_write2_b64 v34, v[46:47], v[44:45] offset0:15 offset1:30
	global_load_dwordx2 v[44:45], v32, s[12:13] offset:360
	ds_read2_b64 v[40:43], v34 offset0:45 offset1:60
	s_waitcnt vmcnt(0) lgkmcnt(0)
	v_mul_f32_e32 v46, v41, v45
	v_mul_f32_e32 v47, v40, v45
	v_fma_f32 v46, v40, v44, -v46
	v_fmac_f32_e32 v47, v41, v44
	global_load_dwordx2 v[40:41], v32, s[12:13] offset:480
	s_waitcnt vmcnt(0)
	v_mul_f32_e32 v44, v43, v41
	v_mul_f32_e32 v45, v42, v41
	v_fma_f32 v44, v42, v40, -v44
	v_fmac_f32_e32 v45, v43, v40
	ds_write2_b64 v34, v[46:47], v[44:45] offset0:45 offset1:60
	;; [unrolled: 14-line block ×3, first 2 shown]
.LBB0_13:
	s_or_b64 exec, exec, s[2:3]
	s_waitcnt lgkmcnt(0)
	s_barrier
	s_and_saveexec_b64 s[2:3], vcc
	s_cbranch_execz .LBB0_15
; %bb.14:
	ds_read_b64 v[29:30], v34
	ds_read2_b64 v[24:27], v34 offset0:15 offset1:30
	ds_read2_b64 v[20:23], v34 offset0:45 offset1:60
	;; [unrolled: 1-line block ×3, first 2 shown]
.LBB0_15:
	s_or_b64 exec, exec, s[2:3]
	s_waitcnt lgkmcnt(0)
	v_add_f32_e32 v40, v18, v24
	v_sub_f32_e32 v18, v24, v18
	v_add_f32_e32 v24, v16, v26
	v_add_f32_e32 v41, v19, v25
	v_sub_f32_e32 v19, v25, v19
	v_add_f32_e32 v25, v17, v27
	v_sub_f32_e32 v16, v26, v16
	v_add_f32_e32 v26, v20, v22
	v_add_f32_e32 v42, v24, v40
	v_sub_f32_e32 v17, v27, v17
	v_add_f32_e32 v27, v21, v23
	v_sub_f32_e32 v20, v22, v20
	v_sub_f32_e32 v21, v23, v21
	v_add_f32_e32 v43, v25, v41
	v_add_f32_e32 v50, v26, v42
	v_sub_f32_e32 v46, v24, v40
	v_sub_f32_e32 v47, v25, v41
	;; [unrolled: 1-line block ×5, first 2 shown]
	v_add_f32_e32 v40, v20, v16
	v_sub_f32_e32 v48, v20, v16
	v_sub_f32_e32 v49, v21, v17
	;; [unrolled: 1-line block ×3, first 2 shown]
	v_add_f32_e32 v51, v27, v43
	v_add_f32_e32 v20, v29, v50
	v_sub_f32_e32 v45, v41, v27
	v_add_f32_e32 v41, v21, v17
	v_sub_f32_e32 v23, v19, v21
	v_sub_f32_e32 v16, v16, v18
	;; [unrolled: 1-line block ×3, first 2 shown]
	v_add_f32_e32 v21, v30, v51
	v_mul_f32_e32 v26, 0x3f4a47b2, v44
	v_mul_f32_e32 v27, 0x3d64c772, v24
	;; [unrolled: 1-line block ×5, first 2 shown]
	s_mov_b32 s2, 0xbf5ff5aa
	v_mov_b32_e32 v43, v20
	s_mov_b32 s3, 0x3f3bfb3b
	v_add_f32_e32 v40, v40, v18
	v_add_f32_e32 v41, v41, v19
	v_mul_f32_e32 v30, 0x3f4a47b2, v45
	v_mul_f32_e32 v18, 0xbf5ff5aa, v16
	v_mul_f32_e32 v19, 0xbf5ff5aa, v17
	v_fmac_f32_e32 v43, 0xbf955555, v50
	v_mov_b32_e32 v45, v21
	v_fma_f32 v24, v46, s3, -v27
	v_fma_f32 v25, v47, s3, -v42
	s_mov_b32 s3, 0xbf3bfb3b
	v_fma_f32 v50, v16, s2, -v44
	v_fma_f32 v16, v17, s2, -v29
	s_mov_b32 s2, 0x3eae86e6
	v_fmac_f32_e32 v45, 0xbf955555, v51
	v_fma_f32 v48, v46, s3, -v26
	v_fma_f32 v49, v47, s3, -v30
	v_fma_f32 v46, v22, s2, -v18
	v_fma_f32 v47, v23, s2, -v19
	v_add_f32_e32 v17, v24, v43
	v_add_f32_e32 v18, v25, v45
	;; [unrolled: 1-line block ×4, first 2 shown]
	v_fmac_f32_e32 v50, 0xbee1c552, v40
	v_fmac_f32_e32 v16, 0xbee1c552, v41
	;; [unrolled: 1-line block ×4, first 2 shown]
	v_sub_f32_e32 v24, v17, v16
	v_add_f32_e32 v25, v50, v18
	v_add_f32_e32 v16, v16, v17
	v_sub_f32_e32 v17, v18, v50
	v_sub_f32_e32 v18, v48, v47
	v_add_f32_e32 v19, v46, v49
	s_barrier
	s_and_saveexec_b64 s[2:3], vcc
	s_cbranch_execz .LBB0_17
; %bb.16:
	v_mul_f32_e32 v22, 0xbeae86e6, v22
	v_mul_f32_e32 v40, 0xbee1c552, v40
	v_add_f32_e32 v22, v44, v22
	v_add_f32_e32 v40, v40, v22
	v_add_f32_e32 v22, v42, v30
	v_mul_f32_e32 v50, 0xbeae86e6, v23
	v_add_f32_e32 v30, v22, v45
	v_add_f32_e32 v22, v27, v26
	v_mul_f32_e32 v41, 0xbee1c552, v41
	v_add_f32_e32 v42, v22, v43
	v_add_f32_e32 v22, v29, v50
	v_add_f32_e32 v29, v41, v22
	v_add_f32_e32 v23, v40, v30
	v_sub_f32_e32 v22, v42, v29
	v_sub_f32_e32 v30, v30, v40
	v_add_f32_e32 v29, v42, v29
	v_lshl_add_u32 v37, v37, 3, v33
	v_sub_f32_e32 v27, v49, v46
	v_add_f32_e32 v26, v47, v48
	ds_write2_b64 v37, v[20:21], v[29:30] offset1:1
	ds_write2_b64 v37, v[26:27], v[24:25] offset0:2 offset1:3
	ds_write2_b64 v37, v[16:17], v[18:19] offset0:4 offset1:5
	ds_write_b64 v37, v[22:23] offset:48
.LBB0_17:
	s_or_b64 exec, exec, s[2:3]
	s_waitcnt lgkmcnt(0)
	s_barrier
	ds_read2_b64 v[20:23], v35 offset1:35
	ds_read_b64 v[26:27], v35 offset:560
	s_and_saveexec_b64 s[2:3], s[0:1]
	s_cbranch_execz .LBB0_19
; %bb.18:
	ds_read_b64 v[24:25], v35 offset:168
	ds_read2_b64 v[16:19], v35 offset0:56 offset1:91
.LBB0_19:
	s_or_b64 exec, exec, s[2:3]
	s_waitcnt lgkmcnt(1)
	v_mul_f32_e32 v29, v5, v23
	v_mul_f32_e32 v5, v5, v22
	v_fmac_f32_e32 v29, v4, v22
	v_fma_f32 v22, v4, v23, -v5
	s_waitcnt lgkmcnt(0)
	v_mul_f32_e32 v23, v7, v27
	v_fmac_f32_e32 v23, v6, v26
	v_mul_f32_e32 v4, v7, v26
	v_add_f32_e32 v5, v29, v23
	v_fma_f32 v7, v6, v27, -v4
	v_fma_f32 v6, -0.5, v5, v20
	v_add_f32_e32 v4, v20, v29
	v_sub_f32_e32 v5, v22, v7
	v_mov_b32_e32 v20, v6
	v_fmac_f32_e32 v20, 0xbf5db3d7, v5
	v_fmac_f32_e32 v6, 0x3f5db3d7, v5
	v_add_f32_e32 v5, v21, v22
	v_add_f32_e32 v5, v5, v7
	;; [unrolled: 1-line block ×3, first 2 shown]
	v_fma_f32 v7, -0.5, v7, v21
	v_sub_f32_e32 v22, v29, v23
	v_mov_b32_e32 v21, v7
	v_add_f32_e32 v4, v4, v23
	v_fmac_f32_e32 v21, 0x3f5db3d7, v22
	v_fmac_f32_e32 v7, 0xbf5db3d7, v22
	s_barrier
	ds_write2_b64 v38, v[4:5], v[20:21] offset1:7
	ds_write_b64 v38, v[6:7] offset:112
	s_and_saveexec_b64 s[2:3], s[0:1]
	s_cbranch_execz .LBB0_21
; %bb.20:
	v_mul_f32_e32 v4, v1, v17
	v_mul_f32_e32 v1, v1, v16
	v_fmac_f32_e32 v4, v0, v16
	v_fma_f32 v7, v0, v17, -v1
	v_mul_f32_e32 v0, v3, v18
	v_mul_f32_e32 v6, v3, v19
	v_fma_f32 v16, v2, v19, -v0
	v_fmac_f32_e32 v6, v2, v18
	v_add_f32_e32 v0, v16, v7
	v_fma_f32 v1, -0.5, v0, v25
	v_add_f32_e32 v0, v6, v4
	v_sub_f32_e32 v5, v4, v6
	v_mov_b32_e32 v3, v1
	v_fma_f32 v0, -0.5, v0, v24
	v_add_f32_e32 v4, v24, v4
	v_fmac_f32_e32 v3, 0x3f5db3d7, v5
	v_sub_f32_e32 v17, v7, v16
	v_mov_b32_e32 v2, v0
	v_fmac_f32_e32 v1, 0xbf5db3d7, v5
	v_add_f32_e32 v5, v25, v7
	v_add_f32_e32 v4, v6, v4
	v_add_u32_sdwa v6, v39, v36 dst_sel:DWORD dst_unused:UNUSED_PAD src0_sel:DWORD src1_sel:BYTE_0
	v_fmac_f32_e32 v2, 0xbf5db3d7, v17
	v_add_f32_e32 v5, v16, v5
	v_lshl_add_u32 v6, v6, 3, v33
	v_fmac_f32_e32 v0, 0x3f5db3d7, v17
	ds_write2_b64 v6, v[4:5], v[2:3] offset1:7
	ds_write_b64 v6, v[0:1] offset:112
.LBB0_21:
	s_or_b64 exec, exec, s[2:3]
	s_waitcnt lgkmcnt(0)
	s_barrier
	ds_read2_b64 v[0:3], v35 offset0:21 offset1:42
	ds_read_b64 v[16:17], v35
	ds_read2_b64 v[4:7], v35 offset0:63 offset1:84
	s_waitcnt lgkmcnt(2)
	v_mul_f32_e32 v18, v13, v1
	v_fmac_f32_e32 v18, v12, v0
	v_mul_f32_e32 v0, v13, v0
	v_fma_f32 v12, v12, v1, -v0
	v_mul_f32_e32 v13, v15, v3
	v_mul_f32_e32 v0, v15, v2
	s_waitcnt lgkmcnt(0)
	v_mul_f32_e32 v15, v9, v5
	v_fmac_f32_e32 v13, v14, v2
	v_fma_f32 v14, v14, v3, -v0
	v_fmac_f32_e32 v15, v8, v4
	v_mul_f32_e32 v0, v9, v4
	v_fma_f32 v8, v8, v5, -v0
	v_mul_f32_e32 v0, v11, v6
	v_add_f32_e32 v1, v13, v15
	v_mul_f32_e32 v5, v11, v7
	v_fma_f32 v9, v10, v7, -v0
	v_fma_f32 v2, -0.5, v1, v16
	v_fmac_f32_e32 v5, v10, v6
	v_sub_f32_e32 v1, v12, v9
	v_mov_b32_e32 v4, v2
	v_fmac_f32_e32 v4, 0xbf737871, v1
	v_sub_f32_e32 v3, v14, v8
	v_sub_f32_e32 v6, v18, v13
	;; [unrolled: 1-line block ×3, first 2 shown]
	v_fmac_f32_e32 v2, 0x3f737871, v1
	v_fmac_f32_e32 v4, 0xbf167918, v3
	v_add_f32_e32 v6, v6, v7
	v_fmac_f32_e32 v2, 0x3f167918, v3
	v_fmac_f32_e32 v4, 0x3e9e377a, v6
	;; [unrolled: 1-line block ×3, first 2 shown]
	v_add_f32_e32 v6, v18, v5
	v_add_f32_e32 v0, v16, v18
	v_fma_f32 v16, -0.5, v6, v16
	v_mov_b32_e32 v6, v16
	v_add_f32_e32 v0, v0, v13
	v_fmac_f32_e32 v6, 0x3f737871, v3
	v_fmac_f32_e32 v16, 0xbf737871, v3
	v_add_f32_e32 v3, v14, v8
	v_add_f32_e32 v0, v0, v15
	v_sub_f32_e32 v7, v13, v18
	v_sub_f32_e32 v10, v15, v5
	v_fma_f32 v3, -0.5, v3, v17
	v_add_f32_e32 v0, v0, v5
	v_fmac_f32_e32 v6, 0xbf167918, v1
	v_add_f32_e32 v7, v7, v10
	v_fmac_f32_e32 v16, 0x3f167918, v1
	v_sub_f32_e32 v10, v18, v5
	v_mov_b32_e32 v5, v3
	v_fmac_f32_e32 v6, 0x3e9e377a, v7
	v_fmac_f32_e32 v16, 0x3e9e377a, v7
	v_fmac_f32_e32 v5, 0x3f737871, v10
	v_sub_f32_e32 v11, v13, v15
	v_sub_f32_e32 v7, v12, v14
	;; [unrolled: 1-line block ×3, first 2 shown]
	v_fmac_f32_e32 v3, 0xbf737871, v10
	v_fmac_f32_e32 v5, 0x3f167918, v11
	v_add_f32_e32 v7, v7, v13
	v_fmac_f32_e32 v3, 0xbf167918, v11
	v_fmac_f32_e32 v5, 0x3e9e377a, v7
	;; [unrolled: 1-line block ×3, first 2 shown]
	v_add_f32_e32 v7, v12, v9
	v_add_f32_e32 v1, v17, v12
	v_fmac_f32_e32 v17, -0.5, v7
	v_add_f32_e32 v1, v1, v14
	v_mov_b32_e32 v7, v17
	v_add_f32_e32 v1, v1, v8
	v_fmac_f32_e32 v7, 0xbf737871, v11
	v_sub_f32_e32 v12, v14, v12
	v_sub_f32_e32 v8, v8, v9
	v_fmac_f32_e32 v17, 0x3f737871, v11
	v_add_f32_e32 v1, v1, v9
	v_fmac_f32_e32 v7, 0x3f167918, v10
	v_add_f32_e32 v8, v12, v8
	v_fmac_f32_e32 v17, 0xbf167918, v10
	v_fmac_f32_e32 v7, 0x3e9e377a, v8
	;; [unrolled: 1-line block ×3, first 2 shown]
	ds_write_b64 v34, v[0:1]
	ds_write2_b64 v34, v[4:5], v[6:7] offset0:21 offset1:42
	ds_write2_b64 v34, v[16:17], v[2:3] offset0:63 offset1:84
	s_waitcnt lgkmcnt(0)
	s_barrier
	s_and_b64 exec, exec, vcc
	s_cbranch_execz .LBB0_23
; %bb.22:
	global_load_dwordx2 v[8:9], v32, s[10:11]
	global_load_dwordx2 v[10:11], v32, s[10:11] offset:120
	global_load_dwordx2 v[12:13], v32, s[10:11] offset:240
	;; [unrolled: 1-line block ×4, first 2 shown]
	ds_read_b64 v[20:21], v34
	ds_read2_b64 v[0:3], v34 offset0:15 offset1:30
	ds_read2_b64 v[4:7], v34 offset0:45 offset1:60
	global_load_dwordx2 v[24:25], v32, s[10:11] offset:600
	global_load_dwordx2 v[26:27], v32, s[10:11] offset:720
	v_mad_u64_u32 v[18:19], s[0:1], s6, v28, 0
	v_mad_u64_u32 v[22:23], s[2:3], s4, v31, 0
	s_mul_i32 s2, s5, 0x78
	s_mul_hi_u32 s3, s4, 0x78
	s_add_i32 s6, s3, s2
	s_waitcnt lgkmcnt(2)
	v_mad_u64_u32 v[28:29], s[2:3], s7, v28, v[19:20]
	v_mov_b32_e32 v33, s9
	s_mulk_i32 s4, 0x78
	v_mov_b32_e32 v19, v28
	v_lshlrev_b64 v[18:19], 3, v[18:19]
	v_mov_b32_e32 v32, s6
	v_add_co_u32_e32 v18, vcc, s8, v18
	v_addc_co_u32_e32 v19, vcc, v33, v19, vcc
	s_mov_b32 s0, 0x13813814
	s_mov_b32 s1, 0x3f838138
	s_waitcnt vmcnt(4) lgkmcnt(1)
	v_mul_f32_e32 v33, v3, v13
	v_mul_f32_e32 v13, v2, v13
	s_waitcnt vmcnt(3) lgkmcnt(0)
	v_mul_f32_e32 v35, v5, v15
	v_mul_f32_e32 v15, v4, v15
	s_waitcnt vmcnt(2)
	v_mul_f32_e32 v36, v7, v17
	s_waitcnt vmcnt(1)
	v_mad_u64_u32 v[29:30], s[2:3], s5, v31, v[23:24]
	v_mov_b32_e32 v30, s6
	v_mul_f32_e32 v17, v6, v17
	v_mov_b32_e32 v23, v29
	v_lshlrev_b64 v[22:23], 3, v[22:23]
	v_fmac_f32_e32 v33, v2, v12
	v_add_co_u32_e32 v18, vcc, v18, v22
	v_addc_co_u32_e32 v19, vcc, v19, v23, vcc
	v_add_co_u32_e32 v22, vcc, s4, v18
	v_addc_co_u32_e32 v23, vcc, v19, v32, vcc
	;; [unrolled: 2-line block ×3, first 2 shown]
	v_mul_f32_e32 v30, v21, v9
	v_mul_f32_e32 v9, v20, v9
	;; [unrolled: 1-line block ×4, first 2 shown]
	v_fmac_f32_e32 v30, v20, v8
	v_fma_f32 v8, v8, v21, -v9
	v_fmac_f32_e32 v32, v0, v10
	v_fma_f32 v9, v10, v1, -v11
	v_fma_f32 v10, v12, v3, -v13
	v_cvt_f64_f32_e32 v[0:1], v30
	v_cvt_f64_f32_e32 v[2:3], v8
	v_fmac_f32_e32 v35, v4, v14
	v_fma_f32 v14, v14, v5, -v15
	v_fmac_f32_e32 v36, v6, v16
	v_fma_f32 v20, v16, v7, -v17
	v_cvt_f64_f32_e32 v[4:5], v32
	v_cvt_f64_f32_e32 v[6:7], v9
	;; [unrolled: 1-line block ×4, first 2 shown]
	v_mul_f64 v[0:1], v[0:1], s[0:1]
	v_mul_f64 v[2:3], v[2:3], s[0:1]
	;; [unrolled: 1-line block ×4, first 2 shown]
	v_cvt_f64_f32_e32 v[12:13], v35
	v_cvt_f64_f32_e32 v[14:15], v14
	v_mul_f64 v[8:9], v[8:9], s[0:1]
	v_mul_f64 v[10:11], v[10:11], s[0:1]
	;; [unrolled: 1-line block ×4, first 2 shown]
	v_cvt_f32_f64_e32 v0, v[0:1]
	v_cvt_f32_f64_e32 v1, v[2:3]
	v_cvt_f64_f32_e32 v[16:17], v36
	v_cvt_f64_f32_e32 v[20:21], v20
	v_cvt_f32_f64_e32 v2, v[4:5]
	v_cvt_f32_f64_e32 v3, v[6:7]
	;; [unrolled: 1-line block ×4, first 2 shown]
	global_store_dwordx2 v[18:19], v[0:1], off
	global_store_dwordx2 v[22:23], v[2:3], off
	;; [unrolled: 1-line block ×3, first 2 shown]
	v_mul_f64 v[4:5], v[16:17], s[0:1]
	v_mul_f64 v[8:9], v[20:21], s[0:1]
	ds_read2_b64 v[0:3], v34 offset0:75 offset1:90
	v_cvt_f32_f64_e32 v6, v[12:13]
	v_cvt_f32_f64_e32 v7, v[14:15]
	v_mov_b32_e32 v31, s6
	v_add_co_u32_e32 v10, vcc, s4, v28
	v_addc_co_u32_e32 v11, vcc, v29, v31, vcc
	global_store_dwordx2 v[10:11], v[6:7], off
	s_waitcnt lgkmcnt(0)
	v_mul_f32_e32 v6, v1, v25
	v_fmac_f32_e32 v6, v0, v24
	v_mul_f32_e32 v0, v0, v25
	v_fma_f32 v0, v24, v1, -v0
	v_cvt_f32_f64_e32 v4, v[4:5]
	v_cvt_f32_f64_e32 v5, v[8:9]
	v_cvt_f64_f32_e32 v[6:7], v6
	v_cvt_f64_f32_e32 v[0:1], v0
	v_mov_b32_e32 v9, s6
	v_add_co_u32_e32 v8, vcc, s4, v10
	v_addc_co_u32_e32 v9, vcc, v11, v9, vcc
	global_store_dwordx2 v[8:9], v[4:5], off
	v_mul_f64 v[4:5], v[6:7], s[0:1]
	v_mul_f64 v[0:1], v[0:1], s[0:1]
	s_waitcnt vmcnt(5)
	v_mul_f32_e32 v6, v3, v27
	v_fmac_f32_e32 v6, v2, v26
	v_mul_f32_e32 v2, v2, v27
	v_fma_f32 v2, v26, v3, -v2
	v_cvt_f64_f32_e32 v[6:7], v6
	v_cvt_f64_f32_e32 v[2:3], v2
	v_cvt_f32_f64_e32 v4, v[4:5]
	v_cvt_f32_f64_e32 v5, v[0:1]
	v_mul_f64 v[0:1], v[6:7], s[0:1]
	v_mul_f64 v[2:3], v[2:3], s[0:1]
	v_mov_b32_e32 v7, s6
	v_add_co_u32_e32 v6, vcc, s4, v8
	v_addc_co_u32_e32 v7, vcc, v9, v7, vcc
	global_store_dwordx2 v[6:7], v[4:5], off
	v_cvt_f32_f64_e32 v0, v[0:1]
	v_cvt_f32_f64_e32 v1, v[2:3]
	v_mov_b32_e32 v3, s6
	v_add_co_u32_e32 v2, vcc, s4, v6
	v_addc_co_u32_e32 v3, vcc, v7, v3, vcc
	global_store_dwordx2 v[2:3], v[0:1], off
.LBB0_23:
	s_endpgm
	.section	.rodata,"a",@progbits
	.p2align	6, 0x0
	.amdhsa_kernel bluestein_single_fwd_len105_dim1_sp_op_CI_CI
		.amdhsa_group_segment_fixed_size 10080
		.amdhsa_private_segment_fixed_size 0
		.amdhsa_kernarg_size 104
		.amdhsa_user_sgpr_count 6
		.amdhsa_user_sgpr_private_segment_buffer 1
		.amdhsa_user_sgpr_dispatch_ptr 0
		.amdhsa_user_sgpr_queue_ptr 0
		.amdhsa_user_sgpr_kernarg_segment_ptr 1
		.amdhsa_user_sgpr_dispatch_id 0
		.amdhsa_user_sgpr_flat_scratch_init 0
		.amdhsa_user_sgpr_private_segment_size 0
		.amdhsa_uses_dynamic_stack 0
		.amdhsa_system_sgpr_private_segment_wavefront_offset 0
		.amdhsa_system_sgpr_workgroup_id_x 1
		.amdhsa_system_sgpr_workgroup_id_y 0
		.amdhsa_system_sgpr_workgroup_id_z 0
		.amdhsa_system_sgpr_workgroup_info 0
		.amdhsa_system_vgpr_workitem_id 0
		.amdhsa_next_free_vgpr 57
		.amdhsa_next_free_sgpr 16
		.amdhsa_reserve_vcc 1
		.amdhsa_reserve_flat_scratch 0
		.amdhsa_float_round_mode_32 0
		.amdhsa_float_round_mode_16_64 0
		.amdhsa_float_denorm_mode_32 3
		.amdhsa_float_denorm_mode_16_64 3
		.amdhsa_dx10_clamp 1
		.amdhsa_ieee_mode 1
		.amdhsa_fp16_overflow 0
		.amdhsa_exception_fp_ieee_invalid_op 0
		.amdhsa_exception_fp_denorm_src 0
		.amdhsa_exception_fp_ieee_div_zero 0
		.amdhsa_exception_fp_ieee_overflow 0
		.amdhsa_exception_fp_ieee_underflow 0
		.amdhsa_exception_fp_ieee_inexact 0
		.amdhsa_exception_int_div_zero 0
	.end_amdhsa_kernel
	.text
.Lfunc_end0:
	.size	bluestein_single_fwd_len105_dim1_sp_op_CI_CI, .Lfunc_end0-bluestein_single_fwd_len105_dim1_sp_op_CI_CI
                                        ; -- End function
	.section	.AMDGPU.csdata,"",@progbits
; Kernel info:
; codeLenInByte = 5028
; NumSgprs: 20
; NumVgprs: 57
; ScratchSize: 0
; MemoryBound: 0
; FloatMode: 240
; IeeeMode: 1
; LDSByteSize: 10080 bytes/workgroup (compile time only)
; SGPRBlocks: 2
; VGPRBlocks: 14
; NumSGPRsForWavesPerEU: 20
; NumVGPRsForWavesPerEU: 57
; Occupancy: 4
; WaveLimiterHint : 1
; COMPUTE_PGM_RSRC2:SCRATCH_EN: 0
; COMPUTE_PGM_RSRC2:USER_SGPR: 6
; COMPUTE_PGM_RSRC2:TRAP_HANDLER: 0
; COMPUTE_PGM_RSRC2:TGID_X_EN: 1
; COMPUTE_PGM_RSRC2:TGID_Y_EN: 0
; COMPUTE_PGM_RSRC2:TGID_Z_EN: 0
; COMPUTE_PGM_RSRC2:TIDIG_COMP_CNT: 0
	.type	__hip_cuid_ce8921272ea38106,@object ; @__hip_cuid_ce8921272ea38106
	.section	.bss,"aw",@nobits
	.globl	__hip_cuid_ce8921272ea38106
__hip_cuid_ce8921272ea38106:
	.byte	0                               ; 0x0
	.size	__hip_cuid_ce8921272ea38106, 1

	.ident	"AMD clang version 19.0.0git (https://github.com/RadeonOpenCompute/llvm-project roc-6.4.0 25133 c7fe45cf4b819c5991fe208aaa96edf142730f1d)"
	.section	".note.GNU-stack","",@progbits
	.addrsig
	.addrsig_sym __hip_cuid_ce8921272ea38106
	.amdgpu_metadata
---
amdhsa.kernels:
  - .args:
      - .actual_access:  read_only
        .address_space:  global
        .offset:         0
        .size:           8
        .value_kind:     global_buffer
      - .actual_access:  read_only
        .address_space:  global
        .offset:         8
        .size:           8
        .value_kind:     global_buffer
      - .actual_access:  read_only
        .address_space:  global
        .offset:         16
        .size:           8
        .value_kind:     global_buffer
      - .actual_access:  read_only
        .address_space:  global
        .offset:         24
        .size:           8
        .value_kind:     global_buffer
      - .actual_access:  read_only
        .address_space:  global
        .offset:         32
        .size:           8
        .value_kind:     global_buffer
      - .offset:         40
        .size:           8
        .value_kind:     by_value
      - .address_space:  global
        .offset:         48
        .size:           8
        .value_kind:     global_buffer
      - .address_space:  global
        .offset:         56
        .size:           8
        .value_kind:     global_buffer
      - .address_space:  global
        .offset:         64
        .size:           8
        .value_kind:     global_buffer
      - .address_space:  global
        .offset:         72
        .size:           8
        .value_kind:     global_buffer
      - .offset:         80
        .size:           4
        .value_kind:     by_value
      - .address_space:  global
        .offset:         88
        .size:           8
        .value_kind:     global_buffer
      - .address_space:  global
        .offset:         96
        .size:           8
        .value_kind:     global_buffer
    .group_segment_fixed_size: 10080
    .kernarg_segment_align: 8
    .kernarg_segment_size: 104
    .language:       OpenCL C
    .language_version:
      - 2
      - 0
    .max_flat_workgroup_size: 252
    .name:           bluestein_single_fwd_len105_dim1_sp_op_CI_CI
    .private_segment_fixed_size: 0
    .sgpr_count:     20
    .sgpr_spill_count: 0
    .symbol:         bluestein_single_fwd_len105_dim1_sp_op_CI_CI.kd
    .uniform_work_group_size: 1
    .uses_dynamic_stack: false
    .vgpr_count:     57
    .vgpr_spill_count: 0
    .wavefront_size: 64
amdhsa.target:   amdgcn-amd-amdhsa--gfx906
amdhsa.version:
  - 1
  - 2
...

	.end_amdgpu_metadata
